;; amdgpu-corpus repo=ROCm/hip-tests kind=compiled arch=gfx950 opt=O3
	.amdgcn_target "amdgcn-amd-amdhsa--gfx950"
	.amdhsa_code_object_version 6
	.text
	.protected	_Z23unsafeAtomicMin_FlatMemPdS_ ; -- Begin function _Z23unsafeAtomicMin_FlatMemPdS_
	.globl	_Z23unsafeAtomicMin_FlatMemPdS_
	.p2align	8
	.type	_Z23unsafeAtomicMin_FlatMemPdS_,@function
_Z23unsafeAtomicMin_FlatMemPdS_:        ; @_Z23unsafeAtomicMin_FlatMemPdS_
; %bb.0:
	v_mov_b32_e32 v0, 0
	v_mov_b32_e32 v1, 0x40140000
	ds_write_b64 v0, v[0:1]
	v_mbcnt_lo_u32_b32 v1, exec_lo, 0
	v_mbcnt_hi_u32_b32 v1, exec_hi, v1
	v_mov_b32_e32 v2, 0
	v_cmp_eq_u32_e32 vcc, 0, v1
	v_mov_b32_e32 v3, 0x40140000
                                        ; implicit-def: $vgpr4_vgpr5
	s_and_saveexec_b64 s[2:3], vcc
	s_cbranch_execz .LBB0_2
; %bb.1:
	v_mov_b32_e32 v2, 0
	v_mov_b32_e32 v3, 0x40240000
	ds_min_rtn_f64 v[4:5], v0, v[2:3]
	ds_read_b64 v[2:3], v0
.LBB0_2:
	s_or_b64 exec, exec, s[2:3]
	s_load_dwordx4 s[0:3], s[0:1], 0x0
	s_waitcnt lgkmcnt(0)
	v_readfirstlane_b32 s5, v5
	v_readfirstlane_b32 s4, v4
	v_mov_b32_e32 v1, 0x40240000
	v_mov_b32_e32 v4, 0x7ff80000
	v_cndmask_b32_e32 v1, v1, v4, vcc
	v_max_f64 v[4:5], s[4:5], s[4:5]
	v_min_f64 v[4:5], v[4:5], v[0:1]
	v_mov_b32_e32 v1, s5
	v_cndmask_b32_e32 v5, v5, v1, vcc
	v_mov_b32_e32 v1, s4
	v_cndmask_b32_e32 v4, v4, v1, vcc
	global_store_dwordx2 v0, v[4:5], s[2:3]
	global_store_dwordx2 v0, v[2:3], s[0:1]
	s_endpgm
	.section	.rodata,"a",@progbits
	.p2align	6, 0x0
	.amdhsa_kernel _Z23unsafeAtomicMin_FlatMemPdS_
		.amdhsa_group_segment_fixed_size 8
		.amdhsa_private_segment_fixed_size 0
		.amdhsa_kernarg_size 16
		.amdhsa_user_sgpr_count 2
		.amdhsa_user_sgpr_dispatch_ptr 0
		.amdhsa_user_sgpr_queue_ptr 0
		.amdhsa_user_sgpr_kernarg_segment_ptr 1
		.amdhsa_user_sgpr_dispatch_id 0
		.amdhsa_user_sgpr_kernarg_preload_length 0
		.amdhsa_user_sgpr_kernarg_preload_offset 0
		.amdhsa_user_sgpr_private_segment_size 0
		.amdhsa_uses_dynamic_stack 0
		.amdhsa_enable_private_segment 0
		.amdhsa_system_sgpr_workgroup_id_x 1
		.amdhsa_system_sgpr_workgroup_id_y 0
		.amdhsa_system_sgpr_workgroup_id_z 0
		.amdhsa_system_sgpr_workgroup_info 0
		.amdhsa_system_vgpr_workitem_id 0
		.amdhsa_next_free_vgpr 6
		.amdhsa_next_free_sgpr 6
		.amdhsa_accum_offset 8
		.amdhsa_reserve_vcc 1
		.amdhsa_float_round_mode_32 0
		.amdhsa_float_round_mode_16_64 0
		.amdhsa_float_denorm_mode_32 3
		.amdhsa_float_denorm_mode_16_64 3
		.amdhsa_dx10_clamp 1
		.amdhsa_ieee_mode 1
		.amdhsa_fp16_overflow 0
		.amdhsa_tg_split 0
		.amdhsa_exception_fp_ieee_invalid_op 0
		.amdhsa_exception_fp_denorm_src 0
		.amdhsa_exception_fp_ieee_div_zero 0
		.amdhsa_exception_fp_ieee_overflow 0
		.amdhsa_exception_fp_ieee_underflow 0
		.amdhsa_exception_fp_ieee_inexact 0
		.amdhsa_exception_int_div_zero 0
	.end_amdhsa_kernel
	.text
.Lfunc_end0:
	.size	_Z23unsafeAtomicMin_FlatMemPdS_, .Lfunc_end0-_Z23unsafeAtomicMin_FlatMemPdS_
                                        ; -- End function
	.set _Z23unsafeAtomicMin_FlatMemPdS_.num_vgpr, 6
	.set _Z23unsafeAtomicMin_FlatMemPdS_.num_agpr, 0
	.set _Z23unsafeAtomicMin_FlatMemPdS_.numbered_sgpr, 6
	.set _Z23unsafeAtomicMin_FlatMemPdS_.num_named_barrier, 0
	.set _Z23unsafeAtomicMin_FlatMemPdS_.private_seg_size, 0
	.set _Z23unsafeAtomicMin_FlatMemPdS_.uses_vcc, 1
	.set _Z23unsafeAtomicMin_FlatMemPdS_.uses_flat_scratch, 0
	.set _Z23unsafeAtomicMin_FlatMemPdS_.has_dyn_sized_stack, 0
	.set _Z23unsafeAtomicMin_FlatMemPdS_.has_recursion, 0
	.set _Z23unsafeAtomicMin_FlatMemPdS_.has_indirect_call, 0
	.section	.AMDGPU.csdata,"",@progbits
; Kernel info:
; codeLenInByte = 184
; TotalNumSgprs: 12
; NumVgprs: 6
; NumAgprs: 0
; TotalNumVgprs: 6
; ScratchSize: 0
; MemoryBound: 0
; FloatMode: 240
; IeeeMode: 1
; LDSByteSize: 8 bytes/workgroup (compile time only)
; SGPRBlocks: 1
; VGPRBlocks: 0
; NumSGPRsForWavesPerEU: 12
; NumVGPRsForWavesPerEU: 6
; AccumOffset: 8
; Occupancy: 8
; WaveLimiterHint : 0
; COMPUTE_PGM_RSRC2:SCRATCH_EN: 0
; COMPUTE_PGM_RSRC2:USER_SGPR: 2
; COMPUTE_PGM_RSRC2:TRAP_HANDLER: 0
; COMPUTE_PGM_RSRC2:TGID_X_EN: 1
; COMPUTE_PGM_RSRC2:TGID_Y_EN: 0
; COMPUTE_PGM_RSRC2:TGID_Z_EN: 0
; COMPUTE_PGM_RSRC2:TIDIG_COMP_CNT: 0
; COMPUTE_PGM_RSRC3_GFX90A:ACCUM_OFFSET: 1
; COMPUTE_PGM_RSRC3_GFX90A:TG_SPLIT: 0
	.text
	.protected	_Z25unsafeAtomicMin_GlobalMemPdS_ ; -- Begin function _Z25unsafeAtomicMin_GlobalMemPdS_
	.globl	_Z25unsafeAtomicMin_GlobalMemPdS_
	.p2align	8
	.type	_Z25unsafeAtomicMin_GlobalMemPdS_,@function
_Z25unsafeAtomicMin_GlobalMemPdS_:      ; @_Z25unsafeAtomicMin_GlobalMemPdS_
; %bb.0:
	s_load_dwordx4 s[0:3], s[0:1], 0x0
	v_mbcnt_lo_u32_b32 v0, exec_lo, 0
	v_mbcnt_hi_u32_b32 v0, exec_hi, v0
	v_cmp_eq_u32_e32 vcc, 0, v0
                                        ; implicit-def: $vgpr0_vgpr1
	s_and_saveexec_b64 s[4:5], vcc
	s_cbranch_execz .LBB1_2
; %bb.1:
	v_mov_b32_e32 v0, 0
	v_mov_b32_e32 v2, 0
	;; [unrolled: 1-line block ×3, first 2 shown]
	s_waitcnt lgkmcnt(0)
	global_atomic_min_f64 v[0:1], v2, v[0:1], s[0:1] sc0
.LBB1_2:
	s_or_b64 exec, exec, s[4:5]
	s_waitcnt vmcnt(0) lgkmcnt(0)
	v_readfirstlane_b32 s1, v1
	v_readfirstlane_b32 s0, v0
	v_mov_b32_e32 v0, 0x40240000
	v_mov_b32_e32 v1, 0x7ff80000
	;; [unrolled: 1-line block ×3, first 2 shown]
	v_cndmask_b32_e32 v3, v0, v1, vcc
	v_max_f64 v[0:1], s[0:1], s[0:1]
	v_min_f64 v[0:1], v[0:1], v[2:3]
	v_mov_b32_e32 v3, s1
	v_cndmask_b32_e32 v1, v1, v3, vcc
	v_mov_b32_e32 v3, s0
	v_cndmask_b32_e32 v0, v0, v3, vcc
	global_store_dwordx2 v2, v[0:1], s[2:3]
	s_endpgm
	.section	.rodata,"a",@progbits
	.p2align	6, 0x0
	.amdhsa_kernel _Z25unsafeAtomicMin_GlobalMemPdS_
		.amdhsa_group_segment_fixed_size 0
		.amdhsa_private_segment_fixed_size 0
		.amdhsa_kernarg_size 16
		.amdhsa_user_sgpr_count 2
		.amdhsa_user_sgpr_dispatch_ptr 0
		.amdhsa_user_sgpr_queue_ptr 0
		.amdhsa_user_sgpr_kernarg_segment_ptr 1
		.amdhsa_user_sgpr_dispatch_id 0
		.amdhsa_user_sgpr_kernarg_preload_length 0
		.amdhsa_user_sgpr_kernarg_preload_offset 0
		.amdhsa_user_sgpr_private_segment_size 0
		.amdhsa_uses_dynamic_stack 0
		.amdhsa_enable_private_segment 0
		.amdhsa_system_sgpr_workgroup_id_x 1
		.amdhsa_system_sgpr_workgroup_id_y 0
		.amdhsa_system_sgpr_workgroup_id_z 0
		.amdhsa_system_sgpr_workgroup_info 0
		.amdhsa_system_vgpr_workitem_id 0
		.amdhsa_next_free_vgpr 4
		.amdhsa_next_free_sgpr 6
		.amdhsa_accum_offset 4
		.amdhsa_reserve_vcc 1
		.amdhsa_float_round_mode_32 0
		.amdhsa_float_round_mode_16_64 0
		.amdhsa_float_denorm_mode_32 3
		.amdhsa_float_denorm_mode_16_64 3
		.amdhsa_dx10_clamp 1
		.amdhsa_ieee_mode 1
		.amdhsa_fp16_overflow 0
		.amdhsa_tg_split 0
		.amdhsa_exception_fp_ieee_invalid_op 0
		.amdhsa_exception_fp_denorm_src 0
		.amdhsa_exception_fp_ieee_div_zero 0
		.amdhsa_exception_fp_ieee_overflow 0
		.amdhsa_exception_fp_ieee_underflow 0
		.amdhsa_exception_fp_ieee_inexact 0
		.amdhsa_exception_int_div_zero 0
	.end_amdhsa_kernel
	.text
.Lfunc_end1:
	.size	_Z25unsafeAtomicMin_GlobalMemPdS_, .Lfunc_end1-_Z25unsafeAtomicMin_GlobalMemPdS_
                                        ; -- End function
	.set _Z25unsafeAtomicMin_GlobalMemPdS_.num_vgpr, 4
	.set _Z25unsafeAtomicMin_GlobalMemPdS_.num_agpr, 0
	.set _Z25unsafeAtomicMin_GlobalMemPdS_.numbered_sgpr, 6
	.set _Z25unsafeAtomicMin_GlobalMemPdS_.num_named_barrier, 0
	.set _Z25unsafeAtomicMin_GlobalMemPdS_.private_seg_size, 0
	.set _Z25unsafeAtomicMin_GlobalMemPdS_.uses_vcc, 1
	.set _Z25unsafeAtomicMin_GlobalMemPdS_.uses_flat_scratch, 0
	.set _Z25unsafeAtomicMin_GlobalMemPdS_.has_dyn_sized_stack, 0
	.set _Z25unsafeAtomicMin_GlobalMemPdS_.has_recursion, 0
	.set _Z25unsafeAtomicMin_GlobalMemPdS_.has_indirect_call, 0
	.section	.AMDGPU.csdata,"",@progbits
; Kernel info:
; codeLenInByte = 148
; TotalNumSgprs: 12
; NumVgprs: 4
; NumAgprs: 0
; TotalNumVgprs: 4
; ScratchSize: 0
; MemoryBound: 0
; FloatMode: 240
; IeeeMode: 1
; LDSByteSize: 0 bytes/workgroup (compile time only)
; SGPRBlocks: 1
; VGPRBlocks: 0
; NumSGPRsForWavesPerEU: 12
; NumVGPRsForWavesPerEU: 4
; AccumOffset: 4
; Occupancy: 8
; WaveLimiterHint : 0
; COMPUTE_PGM_RSRC2:SCRATCH_EN: 0
; COMPUTE_PGM_RSRC2:USER_SGPR: 2
; COMPUTE_PGM_RSRC2:TRAP_HANDLER: 0
; COMPUTE_PGM_RSRC2:TGID_X_EN: 1
; COMPUTE_PGM_RSRC2:TGID_Y_EN: 0
; COMPUTE_PGM_RSRC2:TGID_Z_EN: 0
; COMPUTE_PGM_RSRC2:TIDIG_COMP_CNT: 0
; COMPUTE_PGM_RSRC3_GFX90A:ACCUM_OFFSET: 0
; COMPUTE_PGM_RSRC3_GFX90A:TG_SPLIT: 0
	.text
	.p2alignl 6, 3212836864
	.fill 256, 4, 3212836864
	.section	.AMDGPU.gpr_maximums,"",@progbits
	.set amdgpu.max_num_vgpr, 0
	.set amdgpu.max_num_agpr, 0
	.set amdgpu.max_num_sgpr, 0
	.text
	.type	__hip_cuid_83da8e80cf1ed10d,@object ; @__hip_cuid_83da8e80cf1ed10d
	.section	.bss,"aw",@nobits
	.globl	__hip_cuid_83da8e80cf1ed10d
__hip_cuid_83da8e80cf1ed10d:
	.byte	0                               ; 0x0
	.size	__hip_cuid_83da8e80cf1ed10d, 1

	.ident	"AMD clang version 22.0.0git (https://github.com/RadeonOpenCompute/llvm-project roc-7.2.4 26084 f58b06dce1f9c15707c5f808fd002e18c2accf7e)"
	.section	".note.GNU-stack","",@progbits
	.addrsig
	.addrsig_sym __hip_cuid_83da8e80cf1ed10d
	.amdgpu_metadata
---
amdhsa.kernels:
  - .agpr_count:     0
    .args:
      - .address_space:  global
        .offset:         0
        .size:           8
        .value_kind:     global_buffer
      - .address_space:  global
        .offset:         8
        .size:           8
        .value_kind:     global_buffer
    .group_segment_fixed_size: 8
    .kernarg_segment_align: 8
    .kernarg_segment_size: 16
    .language:       OpenCL C
    .language_version:
      - 2
      - 0
    .max_flat_workgroup_size: 1024
    .name:           _Z23unsafeAtomicMin_FlatMemPdS_
    .private_segment_fixed_size: 0
    .sgpr_count:     12
    .sgpr_spill_count: 0
    .symbol:         _Z23unsafeAtomicMin_FlatMemPdS_.kd
    .uniform_work_group_size: 1
    .uses_dynamic_stack: false
    .vgpr_count:     6
    .vgpr_spill_count: 0
    .wavefront_size: 64
  - .agpr_count:     0
    .args:
      - .address_space:  global
        .offset:         0
        .size:           8
        .value_kind:     global_buffer
      - .address_space:  global
        .offset:         8
        .size:           8
        .value_kind:     global_buffer
    .group_segment_fixed_size: 0
    .kernarg_segment_align: 8
    .kernarg_segment_size: 16
    .language:       OpenCL C
    .language_version:
      - 2
      - 0
    .max_flat_workgroup_size: 1024
    .name:           _Z25unsafeAtomicMin_GlobalMemPdS_
    .private_segment_fixed_size: 0
    .sgpr_count:     12
    .sgpr_spill_count: 0
    .symbol:         _Z25unsafeAtomicMin_GlobalMemPdS_.kd
    .uniform_work_group_size: 1
    .uses_dynamic_stack: false
    .vgpr_count:     4
    .vgpr_spill_count: 0
    .wavefront_size: 64
amdhsa.target:   amdgcn-amd-amdhsa--gfx950
amdhsa.version:
  - 1
  - 2
...

	.end_amdgpu_metadata
